;; amdgpu-corpus repo=ROCm/rocFFT kind=compiled arch=gfx906 opt=O3
	.text
	.amdgcn_target "amdgcn-amd-amdhsa--gfx906"
	.amdhsa_code_object_version 6
	.protected	bluestein_single_back_len220_dim1_sp_op_CI_CI ; -- Begin function bluestein_single_back_len220_dim1_sp_op_CI_CI
	.globl	bluestein_single_back_len220_dim1_sp_op_CI_CI
	.p2align	8
	.type	bluestein_single_back_len220_dim1_sp_op_CI_CI,@function
bluestein_single_back_len220_dim1_sp_op_CI_CI: ; @bluestein_single_back_len220_dim1_sp_op_CI_CI
; %bb.0:
	v_mul_u32_u24_e32 v1, 0xba3, v0
	s_load_dwordx4 s[8:11], s[4:5], 0x28
	v_lshrrev_b32_e32 v1, 16, v1
	v_mad_u64_u32 v[46:47], s[0:1], s6, 5, v[1:2]
	v_mov_b32_e32 v47, 0
	s_waitcnt lgkmcnt(0)
	v_cmp_gt_u64_e32 vcc, s[8:9], v[46:47]
	s_and_saveexec_b64 s[0:1], vcc
	s_cbranch_execz .LBB0_10
; %bb.1:
	s_load_dwordx4 s[0:3], s[4:5], 0x18
	s_load_dwordx4 s[12:15], s[4:5], 0x0
	v_mul_lo_u16_e32 v1, 22, v1
	v_sub_u16_e32 v76, v0, v1
	v_lshlrev_b32_e32 v78, 3, v76
	s_waitcnt lgkmcnt(0)
	s_load_dwordx4 s[16:19], s[0:1], 0x0
	s_waitcnt lgkmcnt(0)
	v_mad_u64_u32 v[0:1], s[0:1], s18, v46, 0
	v_mad_u64_u32 v[2:3], s[0:1], s16, v76, 0
	;; [unrolled: 1-line block ×4, first 2 shown]
	v_mov_b32_e32 v1, v4
	v_lshlrev_b64 v[0:1], 3, v[0:1]
	v_mov_b32_e32 v6, s11
	v_mov_b32_e32 v3, v5
	v_add_co_u32_e32 v4, vcc, s10, v0
	v_addc_co_u32_e32 v5, vcc, v6, v1, vcc
	v_lshlrev_b64 v[0:1], 3, v[2:3]
	s_mul_i32 s0, s17, 0xb0
	v_add_co_u32_e32 v0, vcc, v4, v0
	s_mul_hi_u32 s1, s16, 0xb0
	v_addc_co_u32_e32 v1, vcc, v5, v1, vcc
	s_add_i32 s0, s1, s0
	s_mul_i32 s1, s16, 0xb0
	global_load_dwordx2 v[2:3], v[0:1], off
	v_mov_b32_e32 v4, s0
	v_add_co_u32_e32 v0, vcc, s1, v0
	v_addc_co_u32_e32 v1, vcc, v1, v4, vcc
	v_mov_b32_e32 v5, s0
	v_add_co_u32_e32 v4, vcc, s1, v0
	v_addc_co_u32_e32 v5, vcc, v1, v5, vcc
	;; [unrolled: 3-line block ×4, first 2 shown]
	global_load_dwordx2 v[59:60], v78, s[12:13]
	global_load_dwordx2 v[57:58], v78, s[12:13] offset:176
	global_load_dwordx2 v[55:56], v78, s[12:13] offset:352
	;; [unrolled: 1-line block ×3, first 2 shown]
	global_load_dwordx2 v[10:11], v[0:1], off
	global_load_dwordx2 v[12:13], v[4:5], off
	;; [unrolled: 1-line block ×4, first 2 shown]
	v_mov_b32_e32 v1, s0
	v_add_co_u32_e32 v0, vcc, s1, v8
	v_addc_co_u32_e32 v1, vcc, v9, v1, vcc
	global_load_dwordx2 v[4:5], v[0:1], off
	global_load_dwordx2 v[53:54], v78, s[12:13] offset:704
	global_load_dwordx2 v[47:48], v78, s[12:13] offset:880
	v_mov_b32_e32 v6, s0
	v_add_co_u32_e32 v0, vcc, s1, v0
	v_addc_co_u32_e32 v1, vcc, v1, v6, vcc
	global_load_dwordx2 v[6:7], v[0:1], off
	v_mov_b32_e32 v8, s0
	v_add_co_u32_e32 v0, vcc, s1, v0
	v_addc_co_u32_e32 v1, vcc, v1, v8, vcc
	global_load_dwordx2 v[8:9], v[0:1], off
	global_load_dwordx2 v[49:50], v78, s[12:13] offset:1056
	global_load_dwordx2 v[44:45], v78, s[12:13] offset:1232
	v_mov_b32_e32 v18, s0
	v_add_co_u32_e32 v0, vcc, s1, v0
	v_addc_co_u32_e32 v1, vcc, v1, v18, vcc
	global_load_dwordx2 v[18:19], v[0:1], off
	global_load_dwordx2 v[42:43], v78, s[12:13] offset:1408
	v_mov_b32_e32 v20, s0
	v_add_co_u32_e32 v0, vcc, s1, v0
	v_addc_co_u32_e32 v1, vcc, v1, v20, vcc
	global_load_dwordx2 v[20:21], v[0:1], off
	global_load_dwordx2 v[40:41], v78, s[12:13] offset:1584
	s_mov_b32 s0, 0xcccccccd
	v_mul_hi_u32 v0, v46, s0
	s_load_dwordx4 s[8:11], s[2:3], 0x0
	s_mov_b32 s3, 0xbf167918
	s_mov_b32 s0, 0x3f737871
	v_lshrrev_b32_e32 v0, 2, v0
	v_lshl_add_u32 v0, v0, 2, v0
	v_sub_u32_e32 v0, v46, v0
	v_mul_u32_u24_e32 v1, 0xdc, v0
	v_lshlrev_b32_e32 v77, 3, v1
	v_add_u32_e32 v75, v78, v77
	s_mov_b32 s1, 0x3f167918
	s_mov_b32 s2, 0xbf737871
	v_add_co_u32_e32 v73, vcc, s12, v78
	s_waitcnt vmcnt(18)
	v_mul_f32_e32 v0, v3, v60
	v_mul_f32_e32 v1, v2, v60
	v_fmac_f32_e32 v0, v2, v59
	v_fma_f32 v1, v3, v59, -v1
	s_waitcnt vmcnt(14)
	v_mul_f32_e32 v2, v11, v58
	v_mul_f32_e32 v3, v10, v58
	v_fmac_f32_e32 v2, v10, v57
	v_fma_f32 v3, v11, v57, -v3
	ds_write2_b64 v75, v[0:1], v[2:3] offset1:22
	s_waitcnt vmcnt(13)
	v_mul_f32_e32 v0, v13, v56
	v_mul_f32_e32 v1, v12, v56
	s_waitcnt vmcnt(12)
	v_mul_f32_e32 v2, v15, v52
	v_mul_f32_e32 v3, v14, v52
	v_fmac_f32_e32 v0, v12, v55
	v_fma_f32 v1, v13, v55, -v1
	v_fmac_f32_e32 v2, v14, v51
	v_fma_f32 v3, v15, v51, -v3
	ds_write2_b64 v75, v[0:1], v[2:3] offset0:44 offset1:66
	s_waitcnt vmcnt(9)
	v_mul_f32_e32 v0, v17, v54
	v_mul_f32_e32 v1, v16, v54
	s_waitcnt vmcnt(8)
	v_mul_f32_e32 v2, v5, v48
	v_mul_f32_e32 v3, v4, v48
	v_fmac_f32_e32 v0, v16, v53
	v_fma_f32 v1, v17, v53, -v1
	v_fmac_f32_e32 v2, v4, v47
	v_fma_f32 v3, v5, v47, -v3
	ds_write2_b64 v75, v[0:1], v[2:3] offset0:88 offset1:110
	;; [unrolled: 11-line block ×4, first 2 shown]
	s_waitcnt lgkmcnt(0)
	s_barrier
	ds_read2_b64 v[0:3], v75 offset1:22
	ds_read2_b64 v[4:7], v75 offset0:44 offset1:66
	ds_read2_b64 v[8:11], v75 offset0:88 offset1:110
	;; [unrolled: 1-line block ×3, first 2 shown]
	s_waitcnt lgkmcnt(2)
	v_add_f32_e32 v16, v0, v4
	s_waitcnt lgkmcnt(1)
	v_add_f32_e32 v20, v16, v8
	v_add_f32_e32 v16, v1, v5
	;; [unrolled: 1-line block ×7, first 2 shown]
	ds_read2_b64 v[16:19], v75 offset0:176 offset1:198
	s_waitcnt lgkmcnt(1)
	v_add_f32_e32 v21, v8, v12
	v_sub_f32_e32 v23, v4, v8
	v_fma_f32 v21, -0.5, v21, v0
	v_sub_f32_e32 v22, v9, v13
	s_waitcnt lgkmcnt(0)
	v_sub_f32_e32 v61, v16, v12
	v_sub_f32_e32 v36, v5, v17
	v_add_f32_e32 v23, v23, v61
	v_mov_b32_e32 v61, v21
	v_fmac_f32_e32 v61, 0x3f737871, v36
	v_fmac_f32_e32 v21, 0xbf737871, v36
	;; [unrolled: 1-line block ×4, first 2 shown]
	v_sub_f32_e32 v24, v8, v4
	v_add_f32_e32 v37, v4, v16
	v_fmac_f32_e32 v61, 0x3e9e377a, v23
	v_fmac_f32_e32 v21, 0x3e9e377a, v23
	v_sub_f32_e32 v23, v12, v16
	v_add_f32_e32 v23, v24, v23
	v_fma_f32 v24, -0.5, v37, v0
	v_mov_b32_e32 v37, v24
	v_add_f32_e32 v26, v9, v13
	v_fmac_f32_e32 v37, 0xbf737871, v22
	v_fmac_f32_e32 v24, 0x3f737871, v22
	;; [unrolled: 1-line block ×4, first 2 shown]
	v_fma_f32 v22, -0.5, v26, v1
	v_sub_f32_e32 v4, v4, v16
	v_fmac_f32_e32 v37, 0x3e9e377a, v23
	v_fmac_f32_e32 v24, 0x3e9e377a, v23
	v_mov_b32_e32 v23, v22
	v_sub_f32_e32 v8, v8, v12
	v_sub_f32_e32 v27, v5, v9
	;; [unrolled: 1-line block ×3, first 2 shown]
	v_add_f32_e32 v5, v5, v17
	v_sub_f32_e32 v0, v17, v13
	v_fmac_f32_e32 v23, 0xbf737871, v4
	v_fmac_f32_e32 v22, 0x3f737871, v4
	v_add_f32_e32 v0, v27, v0
	v_fmac_f32_e32 v23, 0xbf167918, v8
	v_fmac_f32_e32 v22, 0x3f167918, v8
	v_fma_f32 v26, -0.5, v5, v1
	v_add_f32_e32 v29, v10, v14
	v_fmac_f32_e32 v23, 0x3e9e377a, v0
	v_fmac_f32_e32 v22, 0x3e9e377a, v0
	v_sub_f32_e32 v0, v13, v17
	v_mov_b32_e32 v27, v26
	v_add_f32_e32 v0, v9, v0
	v_fmac_f32_e32 v27, 0x3f737871, v8
	v_fmac_f32_e32 v26, 0xbf737871, v8
	v_fma_f32 v9, -0.5, v29, v2
	v_sub_f32_e32 v38, v7, v19
	v_add_f32_e32 v39, v6, v18
	v_fmac_f32_e32 v27, 0xbf167918, v4
	v_fmac_f32_e32 v26, 0x3f167918, v4
	v_mov_b32_e32 v1, v9
	v_sub_f32_e32 v30, v11, v15
	v_sub_f32_e32 v31, v6, v10
	v_fmac_f32_e32 v27, 0x3e9e377a, v0
	v_fmac_f32_e32 v26, 0x3e9e377a, v0
	v_sub_f32_e32 v0, v18, v14
	v_fmac_f32_e32 v1, 0x3f737871, v38
	v_fmac_f32_e32 v9, 0xbf737871, v38
	v_fma_f32 v29, -0.5, v39, v2
	v_add_f32_e32 v34, v11, v15
	v_add_f32_e32 v0, v31, v0
	v_fmac_f32_e32 v1, 0x3f167918, v30
	v_fmac_f32_e32 v9, 0xbf167918, v30
	v_mov_b32_e32 v5, v29
	v_sub_f32_e32 v32, v10, v6
	v_fmac_f32_e32 v1, 0x3e9e377a, v0
	v_fmac_f32_e32 v9, 0x3e9e377a, v0
	v_sub_f32_e32 v0, v14, v18
	v_fmac_f32_e32 v5, 0xbf737871, v30
	v_fmac_f32_e32 v29, 0x3f737871, v30
	v_fma_f32 v30, -0.5, v34, v3
	v_sub_f32_e32 v6, v6, v18
	v_add_f32_e32 v0, v32, v0
	v_fmac_f32_e32 v5, 0x3f167918, v38
	v_fmac_f32_e32 v29, 0xbf167918, v38
	v_mov_b32_e32 v8, v30
	v_sub_f32_e32 v10, v10, v14
	v_sub_f32_e32 v35, v7, v11
	v_fmac_f32_e32 v5, 0x3e9e377a, v0
	v_fmac_f32_e32 v29, 0x3e9e377a, v0
	v_sub_f32_e32 v0, v19, v15
	v_fmac_f32_e32 v8, 0xbf737871, v6
	v_fmac_f32_e32 v30, 0x3f737871, v6
	v_add_f32_e32 v0, v35, v0
	v_fmac_f32_e32 v8, 0xbf167918, v10
	v_fmac_f32_e32 v30, 0x3f167918, v10
	;; [unrolled: 1-line block ×4, first 2 shown]
	v_add_f32_e32 v0, v20, v12
	v_sub_f32_e32 v11, v11, v7
	v_add_f32_e32 v7, v7, v19
	v_add_f32_e32 v12, v0, v16
	v_add_f32_e32 v0, v25, v13
	v_add_f32_e32 v13, v0, v17
	v_add_f32_e32 v0, v28, v14
	v_fmac_f32_e32 v3, -0.5, v7
	v_add_f32_e32 v14, v0, v18
	v_add_f32_e32 v0, v33, v15
	v_mov_b32_e32 v7, v3
	v_add_f32_e32 v17, v0, v19
	v_fmac_f32_e32 v7, 0x3f737871, v10
	v_sub_f32_e32 v0, v15, v19
	v_fmac_f32_e32 v7, 0xbf167918, v6
	v_add_f32_e32 v0, v11, v0
	v_fmac_f32_e32 v7, 0x3e9e377a, v0
	v_fmac_f32_e32 v3, 0xbf737871, v10
	;; [unrolled: 1-line block ×3, first 2 shown]
	v_mul_f32_e32 v15, 0x3f737871, v7
	v_mul_f32_e32 v20, 0xbf737871, v5
	v_fmac_f32_e32 v3, 0x3e9e377a, v0
	v_mul_f32_e32 v11, 0x3f4f1bbd, v1
	v_fmac_f32_e32 v15, 0x3e9e377a, v5
	;; [unrolled: 2-line block ×3, first 2 shown]
	v_mul_f32_e32 v10, 0x3f4f1bbd, v30
	v_add_f32_e32 v0, v12, v14
	v_fmac_f32_e32 v11, 0x3f167918, v8
	v_add_f32_e32 v4, v37, v15
	v_mul_f32_e32 v6, 0x3e9e377a, v29
	v_fmac_f32_e32 v19, 0x3f4f1bbd, v8
	v_mul_f32_e32 v1, 0x3f4f1bbd, v9
	v_mul_f32_e32 v7, 0x3e9e377a, v3
	v_add_f32_e32 v5, v27, v20
	v_fma_f32 v28, v9, s3, -v10
	v_sub_f32_e32 v10, v12, v14
	v_sub_f32_e32 v14, v37, v15
	;; [unrolled: 1-line block ×3, first 2 shown]
	v_mul_lo_u16_e32 v20, 10, v76
	v_add_f32_e32 v2, v61, v11
	v_fma_f32 v16, v3, s0, -v6
	v_fma_f32 v18, v30, s1, -v1
	v_add_f32_e32 v1, v13, v17
	v_add_f32_e32 v3, v23, v19
	v_fma_f32 v25, v29, s2, -v7
	v_lshl_add_u32 v79, v20, 3, v77
	v_add_f32_e32 v6, v24, v16
	v_add_f32_e32 v8, v21, v18
	;; [unrolled: 1-line block ×4, first 2 shown]
	v_sub_f32_e32 v12, v61, v11
	v_sub_f32_e32 v16, v24, v16
	;; [unrolled: 1-line block ×7, first 2 shown]
	s_barrier
	ds_write_b128 v79, v[0:3]
	ds_write_b128 v79, v[4:7] offset:16
	ds_write_b128 v79, v[8:11] offset:32
	;; [unrolled: 1-line block ×4, first 2 shown]
	s_movk_i32 s0, 0xcd
	v_add_u16_e32 v1, 22, v76
	v_mul_lo_u16_sdwa v2, v1, s0 dst_sel:DWORD dst_unused:UNUSED_PAD src0_sel:BYTE_0 src1_sel:DWORD
	v_lshrrev_b16_e32 v12, 11, v2
	v_mul_lo_u16_e32 v2, 10, v12
	v_sub_u16_e32 v13, v1, v2
	v_add_u16_e32 v2, 44, v76
	v_mul_lo_u16_sdwa v3, v2, s0 dst_sel:DWORD dst_unused:UNUSED_PAD src0_sel:BYTE_0 src1_sel:DWORD
	v_lshrrev_b16_e32 v14, 11, v3
	v_mul_lo_u16_e32 v3, 10, v14
	v_sub_u16_e32 v15, v2, v3
	v_add_u16_e32 v3, 0x42, v76
	v_mov_b32_e32 v0, 3
	v_mul_lo_u16_sdwa v4, v3, s0 dst_sel:DWORD dst_unused:UNUSED_PAD src0_sel:BYTE_0 src1_sel:DWORD
	v_lshlrev_b32_sdwa v1, v0, v13 dst_sel:DWORD dst_unused:UNUSED_PAD src0_sel:DWORD src1_sel:BYTE_0
	v_lshrrev_b16_e32 v16, 11, v4
	s_waitcnt lgkmcnt(0)
	s_barrier
	global_load_dwordx2 v[65:66], v1, s[14:15]
	v_mul_lo_u16_e32 v1, 10, v16
	v_sub_u16_e32 v17, v3, v1
	v_lshlrev_b32_sdwa v2, v0, v15 dst_sel:DWORD dst_unused:UNUSED_PAD src0_sel:DWORD src1_sel:BYTE_0
	v_lshlrev_b32_sdwa v1, v0, v17 dst_sel:DWORD dst_unused:UNUSED_PAD src0_sel:DWORD src1_sel:BYTE_0
	global_load_dwordx2 v[63:64], v2, s[14:15]
	global_load_dwordx2 v[61:62], v1, s[14:15]
	v_add_u16_e32 v1, 0x58, v76
	v_mul_lo_u16_sdwa v2, v1, s0 dst_sel:DWORD dst_unused:UNUSED_PAD src0_sel:BYTE_0 src1_sel:DWORD
	v_lshrrev_b16_e32 v18, 11, v2
	v_mul_lo_u16_e32 v2, 10, v18
	v_sub_u16_e32 v19, v1, v2
	v_lshlrev_b32_sdwa v1, v0, v19 dst_sel:DWORD dst_unused:UNUSED_PAD src0_sel:DWORD src1_sel:BYTE_0
	global_load_dwordx2 v[67:68], v1, s[14:15]
	v_mul_lo_u16_sdwa v1, v76, s0 dst_sel:DWORD dst_unused:UNUSED_PAD src0_sel:BYTE_0 src1_sel:DWORD
	v_lshrrev_b16_e32 v71, 11, v1
	v_mul_lo_u16_e32 v1, 10, v71
	v_sub_u16_e32 v72, v76, v1
	v_lshlrev_b32_sdwa v0, v0, v72 dst_sel:DWORD dst_unused:UNUSED_PAD src0_sel:DWORD src1_sel:BYTE_0
	global_load_dwordx2 v[69:70], v0, s[14:15]
	ds_read2_b64 v[0:3], v75 offset0:132 offset1:154
	ds_read2_b64 v[4:7], v75 offset0:176 offset1:198
	s_load_dwordx2 s[2:3], s[4:5], 0x38
	s_waitcnt vmcnt(4) lgkmcnt(0)
	v_mul_f32_e32 v8, v1, v66
	v_fma_f32 v8, v0, v65, -v8
	v_mul_f32_e32 v9, v0, v66
	v_fmac_f32_e32 v9, v1, v65
	s_waitcnt vmcnt(3)
	v_mul_f32_e32 v0, v3, v64
	v_fma_f32 v28, v2, v63, -v0
	v_mul_f32_e32 v29, v2, v64
	s_waitcnt vmcnt(2)
	v_mul_f32_e32 v0, v5, v62
	v_fmac_f32_e32 v29, v3, v63
	v_fma_f32 v32, v4, v61, -v0
	ds_read2_b64 v[0:3], v75 offset0:88 offset1:110
	v_mul_f32_e32 v33, v4, v62
	s_waitcnt vmcnt(1)
	v_mul_f32_e32 v4, v7, v68
	v_mul_f32_e32 v37, v6, v68
	v_fmac_f32_e32 v33, v5, v61
	v_fma_f32 v36, v6, v67, -v4
	v_fmac_f32_e32 v37, v7, v67
	ds_read2_b64 v[4:7], v75 offset1:22
	s_waitcnt vmcnt(0) lgkmcnt(1)
	v_mul_f32_e32 v10, v3, v70
	v_fma_f32 v10, v2, v69, -v10
	v_sub_f32_e32 v38, v0, v36
	v_mul_f32_e32 v2, v2, v70
	s_waitcnt lgkmcnt(0)
	v_sub_f32_e32 v22, v4, v10
	v_sub_f32_e32 v26, v6, v8
	;; [unrolled: 1-line block ×3, first 2 shown]
	ds_read2_b64 v[8:11], v75 offset0:44 offset1:66
	v_fma_f32 v36, v0, 2.0, -v38
	v_mov_b32_e32 v0, s13
	v_fmac_f32_e32 v2, v3, v69
	v_sub_f32_e32 v39, v1, v37
	v_addc_co_u32_e32 v74, vcc, 0, v0, vcc
	v_mad_legacy_u16 v0, v71, 20, v72
	v_sub_f32_e32 v23, v5, v2
	v_fma_f32 v20, v4, 2.0, -v22
	v_fma_f32 v37, v1, 2.0, -v39
	v_mad_legacy_u16 v1, v12, 20, v13
	v_mul_u32_u24_e32 v2, 20, v14
	v_mul_u32_u24_e32 v3, 20, v16
	;; [unrolled: 1-line block ×3, first 2 shown]
	v_and_b32_e32 v0, 0xff, v0
	s_waitcnt lgkmcnt(0)
	v_sub_f32_e32 v30, v8, v28
	v_sub_f32_e32 v31, v9, v29
	;; [unrolled: 1-line block ×4, first 2 shown]
	v_add_u32_sdwa v2, v2, v15 dst_sel:DWORD dst_unused:UNUSED_PAD src0_sel:DWORD src1_sel:BYTE_0
	v_add_u32_sdwa v3, v3, v17 dst_sel:DWORD dst_unused:UNUSED_PAD src0_sel:DWORD src1_sel:BYTE_0
	v_add_u32_sdwa v4, v4, v19 dst_sel:DWORD dst_unused:UNUSED_PAD src0_sel:DWORD src1_sel:BYTE_0
	v_lshl_add_u32 v84, v0, 3, v77
	v_and_b32_e32 v0, 0xff, v1
	v_fma_f32 v21, v5, 2.0, -v23
	v_fma_f32 v24, v6, 2.0, -v26
	;; [unrolled: 1-line block ×7, first 2 shown]
	v_lshl_add_u32 v83, v0, 3, v77
	v_lshl_add_u32 v82, v2, 3, v77
	;; [unrolled: 1-line block ×4, first 2 shown]
	v_cmp_gt_u16_e32 vcc, 20, v76
	s_barrier
	ds_write2_b64 v84, v[20:21], v[22:23] offset1:10
	ds_write2_b64 v83, v[24:25], v[26:27] offset1:10
	;; [unrolled: 1-line block ×5, first 2 shown]
	s_waitcnt lgkmcnt(0)
	s_barrier
	s_waitcnt lgkmcnt(0)
                                        ; implicit-def: $vgpr71
	s_and_saveexec_b64 s[0:1], vcc
	s_cbranch_execz .LBB0_3
; %bb.2:
	ds_read2_b64 v[20:23], v75 offset1:20
	ds_read2_b64 v[24:27], v75 offset0:40 offset1:60
	ds_read2_b64 v[28:31], v75 offset0:80 offset1:100
	;; [unrolled: 1-line block ×4, first 2 shown]
	ds_read_b64 v[71:72], v75 offset:1600
.LBB0_3:
	s_or_b64 exec, exec, s[0:1]
	v_subrev_u32_e32 v0, 20, v76
	v_cndmask_b32_e32 v0, v0, v76, vcc
	v_mul_hi_i32_i24_e32 v1, 0x50, v0
	v_mul_i32_i24_e32 v0, 0x50, v0
	v_mov_b32_e32 v2, s15
	v_add_co_u32_e64 v85, s[0:1], s14, v0
	v_addc_co_u32_e64 v86, s[0:1], v2, v1, s[0:1]
	global_load_dwordx4 v[12:15], v[85:86], off offset:80
	global_load_dwordx4 v[4:7], v[85:86], off offset:96
	;; [unrolled: 1-line block ×5, first 2 shown]
	s_mov_b32 s4, 0x3f575c64
	s_mov_b32 s5, 0x3ed4b147
	;; [unrolled: 1-line block ×5, first 2 shown]
	s_waitcnt vmcnt(4) lgkmcnt(5)
	v_mul_f32_e32 v85, v22, v13
	s_waitcnt lgkmcnt(4)
	v_mul_f32_e32 v86, v24, v15
	s_waitcnt vmcnt(2) lgkmcnt(3)
	v_mul_f32_e32 v89, v30, v1
	s_waitcnt lgkmcnt(2)
	v_mul_f32_e32 v100, v33, v3
	s_waitcnt vmcnt(0) lgkmcnt(0)
	v_mul_f32_e32 v95, v71, v19
	v_mul_f32_e32 v93, v38, v17
	v_fmac_f32_e32 v85, v23, v12
	v_fmac_f32_e32 v95, v72, v18
	v_mul_f32_e32 v94, v23, v13
	v_mul_f32_e32 v87, v26, v5
	;; [unrolled: 1-line block ×8, first 2 shown]
	v_fmac_f32_e32 v86, v25, v14
	v_fmac_f32_e32 v89, v31, v0
	v_fma_f32 v31, v32, v2, -v100
	v_fmac_f32_e32 v93, v39, v16
	v_sub_f32_e32 v100, v85, v95
	v_mul_f32_e32 v96, v25, v15
	v_mul_f32_e32 v90, v32, v3
	;; [unrolled: 1-line block ×3, first 2 shown]
	v_fma_f32 v94, v22, v12, -v94
	v_fmac_f32_e32 v87, v27, v4
	v_fma_f32 v32, v34, v8, -v101
	v_fmac_f32_e32 v91, v35, v8
	v_fmac_f32_e32 v92, v37, v10
	v_fma_f32 v34, v38, v16, -v103
	v_fma_f32 v35, v71, v18, -v104
	v_sub_f32_e32 v101, v86, v93
	v_mul_f32_e32 v38, 0xbf0a6770, v100
	v_mul_f32_e32 v97, v27, v5
	v_fma_f32 v96, v24, v14, -v96
	v_fmac_f32_e32 v90, v33, v2
	v_fma_f32 v33, v36, v10, -v102
	v_add_f32_e32 v22, v94, v35
	v_sub_f32_e32 v102, v87, v92
	v_mul_f32_e32 v39, 0xbf68dda4, v101
	v_mov_b32_e32 v36, v38
	v_mul_f32_e32 v88, v28, v7
	v_fma_f32 v97, v26, v4, -v97
	v_fma_f32 v30, v30, v0, -v99
	v_add_f32_e32 v23, v96, v34
	v_mul_f32_e32 v99, 0xbf7d64f0, v102
	v_mov_b32_e32 v71, v39
	v_fmac_f32_e32 v36, 0x3f575c64, v22
	v_fmac_f32_e32 v88, v29, v6
	v_sub_f32_e32 v107, v94, v35
	v_add_f32_e32 v24, v97, v33
	v_mov_b32_e32 v106, v99
	v_fmac_f32_e32 v71, 0x3ed4b147, v23
	v_add_f32_e32 v36, v20, v36
	v_mul_f32_e32 v98, v29, v7
	v_add_f32_e32 v26, v85, v95
	v_sub_f32_e32 v108, v96, v34
	v_mul_f32_e32 v103, 0xbf0a6770, v107
	v_fmac_f32_e32 v106, 0xbe11bafb, v24
	v_add_f32_e32 v36, v71, v36
	v_sub_f32_e32 v113, v88, v91
	v_fma_f32 v98, v28, v6, -v98
	v_add_f32_e32 v27, v86, v93
	v_sub_f32_e32 v109, v97, v33
	v_mul_f32_e32 v104, 0xbf68dda4, v108
	v_fma_f32 v37, v26, s4, -v103
	v_add_f32_e32 v36, v106, v36
	v_mul_f32_e32 v106, 0xbf4178ce, v113
	v_add_f32_e32 v28, v87, v92
	v_add_f32_e32 v25, v98, v32
	v_sub_f32_e32 v112, v98, v32
	v_mul_f32_e32 v105, 0xbf7d64f0, v109
	v_fma_f32 v72, v27, s5, -v104
	v_add_f32_e32 v37, v21, v37
	v_mov_b32_e32 v71, v106
	v_add_f32_e32 v29, v88, v91
	v_fma_f32 v110, v28, s6, -v105
	v_add_f32_e32 v37, v72, v37
	v_mul_f32_e32 v111, 0xbf4178ce, v112
	v_fmac_f32_e32 v71, 0xbf27a4f4, v25
	v_sub_f32_e32 v115, v89, v90
	v_add_f32_e32 v37, v110, v37
	v_add_f32_e32 v71, v71, v36
	v_fma_f32 v36, v29, s7, -v111
	v_mul_f32_e32 v110, 0xbe903f40, v115
	v_add_f32_e32 v72, v36, v37
	v_add_f32_e32 v36, v30, v31
	v_sub_f32_e32 v116, v30, v31
	v_mov_b32_e32 v117, v110
	v_add_f32_e32 v37, v89, v90
	v_mul_f32_e32 v114, 0xbe903f40, v116
	v_fmac_f32_e32 v117, 0xbf75a155, v36
	v_add_f32_e32 v71, v117, v71
	v_fma_f32 v117, v37, s14, -v114
	v_add_f32_e32 v72, v117, v72
	s_and_saveexec_b64 s[0:1], vcc
	s_cbranch_execz .LBB0_5
; %bb.4:
	v_mul_f32_e32 v125, 0xbe11bafb, v26
	v_mov_b32_e32 v117, v125
	v_mul_f32_e32 v126, 0xbf75a155, v27
	v_fmac_f32_e32 v117, 0x3f7d64f0, v107
	v_mov_b32_e32 v118, v126
	v_add_f32_e32 v117, v21, v117
	v_fmac_f32_e32 v118, 0xbe903f40, v108
	v_mul_f32_e32 v137, 0x3ed4b147, v28
	v_add_f32_e32 v117, v118, v117
	v_mov_b32_e32 v118, v137
	v_fmac_f32_e32 v118, 0xbf68dda4, v109
	v_mul_f32_e32 v138, 0x3f575c64, v29
	v_add_f32_e32 v117, v118, v117
	v_mov_b32_e32 v118, v138
	v_fmac_f32_e32 v118, 0x3f0a6770, v112
	v_mul_f32_e32 v139, 0xbf27a4f4, v37
	v_add_f32_e32 v117, v118, v117
	v_mov_b32_e32 v118, v139
	v_fmac_f32_e32 v118, 0x3f4178ce, v116
	v_mul_f32_e32 v140, 0xbf7d64f0, v100
	v_add_f32_e32 v118, v118, v117
	v_mov_b32_e32 v117, v140
	v_mul_f32_e32 v141, 0x3e903f40, v101
	v_fmac_f32_e32 v117, 0xbe11bafb, v22
	v_mov_b32_e32 v119, v141
	v_add_f32_e32 v117, v20, v117
	v_fmac_f32_e32 v119, 0xbf75a155, v23
	v_mul_f32_e32 v142, 0x3f68dda4, v102
	v_add_f32_e32 v117, v119, v117
	v_mov_b32_e32 v119, v142
	v_fmac_f32_e32 v119, 0x3ed4b147, v24
	v_mul_f32_e32 v143, 0xbf0a6770, v113
	v_add_f32_e32 v117, v119, v117
	v_mov_b32_e32 v119, v143
	v_fmac_f32_e32 v119, 0x3f575c64, v25
	v_mul_f32_e32 v144, 0xbf4178ce, v115
	v_add_f32_e32 v117, v119, v117
	v_mov_b32_e32 v119, v144
	v_fmac_f32_e32 v119, 0xbf27a4f4, v36
	v_mul_f32_e32 v121, 0xbf75a155, v26
	v_add_f32_e32 v117, v119, v117
	;; [unrolled: 20-line block ×3, first 2 shown]
	v_mov_b32_e32 v119, v146
	v_mul_f32_e32 v147, 0x3f0a6770, v101
	v_mul_f32_e32 v127, 0x3f575c64, v22
	v_fmac_f32_e32 v119, 0xbf75a155, v22
	v_mov_b32_e32 v148, v147
	v_fmac_f32_e32 v121, 0xbe903f40, v107
	v_mul_f32_e32 v129, 0x3ed4b147, v23
	v_add_f32_e32 v119, v20, v119
	v_fmac_f32_e32 v148, 0x3f575c64, v23
	v_add_f32_e32 v121, v21, v121
	v_fmac_f32_e32 v122, 0x3f0a6770, v108
	v_sub_f32_e32 v38, v127, v38
	v_mul_f32_e32 v131, 0xbe11bafb, v24
	v_add_f32_e32 v119, v148, v119
	v_mul_f32_e32 v148, 0xbf4178ce, v102
	v_add_f32_e32 v121, v122, v121
	v_fmac_f32_e32 v123, 0xbf4178ce, v109
	v_add_f32_e32 v38, v20, v38
	v_sub_f32_e32 v39, v129, v39
	v_mul_f32_e32 v133, 0xbf27a4f4, v25
	v_mov_b32_e32 v149, v148
	v_add_f32_e32 v121, v123, v121
	v_fmac_f32_e32 v124, 0x3f68dda4, v112
	v_fmac_f32_e32 v125, 0xbf7d64f0, v107
	v_add_f32_e32 v38, v39, v38
	v_sub_f32_e32 v39, v131, v99
	v_mul_f32_e32 v135, 0xbf75a155, v36
	v_fmac_f32_e32 v149, 0xbf27a4f4, v24
	v_add_f32_e32 v121, v124, v121
	v_fmac_f32_e32 v145, 0xbf7d64f0, v116
	v_add_f32_e32 v125, v21, v125
	v_fmac_f32_e32 v126, 0x3e903f40, v108
	v_add_f32_e32 v38, v39, v38
	v_sub_f32_e32 v39, v133, v106
	v_add_f32_e32 v119, v149, v119
	v_mul_f32_e32 v149, 0x3f68dda4, v113
	v_add_f32_e32 v122, v145, v121
	v_fma_f32 v121, v22, s14, -v146
	v_add_f32_e32 v125, v126, v125
	v_fmac_f32_e32 v137, 0x3f68dda4, v109
	v_add_f32_e32 v38, v39, v38
	v_sub_f32_e32 v39, v135, v110
	v_mov_b32_e32 v150, v149
	v_add_f32_e32 v121, v20, v121
	v_fma_f32 v123, v23, s4, -v147
	v_add_f32_e32 v125, v137, v125
	v_fmac_f32_e32 v138, 0xbf0a6770, v112
	v_add_f32_e32 v99, v39, v38
	v_add_f32_e32 v38, v21, v85
	v_fmac_f32_e32 v150, 0x3ed4b147, v25
	v_add_f32_e32 v121, v123, v121
	v_fma_f32 v123, v24, s7, -v148
	v_add_f32_e32 v125, v138, v125
	v_fmac_f32_e32 v139, 0xbf4178ce, v116
	v_add_f32_e32 v38, v38, v86
	v_add_f32_e32 v119, v150, v119
	v_mul_f32_e32 v150, 0xbf7d64f0, v115
	v_add_f32_e32 v121, v123, v121
	v_fma_f32 v123, v25, s5, -v149
	v_add_f32_e32 v126, v139, v125
	v_fma_f32 v125, v22, s6, -v140
	v_add_f32_e32 v38, v38, v87
	v_add_f32_e32 v121, v123, v121
	v_fma_f32 v123, v36, s6, -v150
	v_mul_f32_e32 v145, 0xbf4178ce, v107
	v_add_f32_e32 v125, v20, v125
	v_fma_f32 v137, v23, s14, -v141
	v_add_f32_e32 v38, v38, v88
	v_add_f32_e32 v121, v123, v121
	v_mov_b32_e32 v123, v145
	v_mul_f32_e32 v146, 0x3f7d64f0, v108
	v_add_f32_e32 v125, v137, v125
	v_fma_f32 v137, v24, s5, -v142
	v_add_f32_e32 v38, v38, v89
	v_fmac_f32_e32 v123, 0xbf27a4f4, v26
	v_mov_b32_e32 v124, v146
	v_add_f32_e32 v125, v137, v125
	v_fma_f32 v137, v25, s4, -v143
	v_add_f32_e32 v38, v38, v90
	v_add_f32_e32 v123, v21, v123
	v_fmac_f32_e32 v124, 0xbe11bafb, v27
	v_mul_f32_e32 v147, 0xbf0a6770, v109
	v_add_f32_e32 v125, v137, v125
	v_fma_f32 v137, v36, s7, -v144
	v_add_f32_e32 v38, v38, v91
	v_add_f32_e32 v123, v124, v123
	v_mov_b32_e32 v124, v147
	v_add_f32_e32 v125, v137, v125
	v_mul_f32_e32 v137, 0xbf68dda4, v107
	v_add_f32_e32 v38, v38, v92
	v_fmac_f32_e32 v124, 0x3f575c64, v28
	v_mul_f32_e32 v148, 0xbe903f40, v112
	v_mov_b32_e32 v107, v137
	v_mul_f32_e32 v138, 0xbf4178ce, v108
	v_add_f32_e32 v38, v38, v93
	v_add_f32_e32 v123, v124, v123
	v_mov_b32_e32 v124, v148
	v_fmac_f32_e32 v107, 0x3ed4b147, v26
	v_mov_b32_e32 v108, v138
	v_add_f32_e32 v39, v38, v95
	v_add_f32_e32 v38, v20, v94
	v_fmac_f32_e32 v124, 0xbf75a155, v29
	v_mul_f32_e32 v149, 0x3f68dda4, v116
	v_add_f32_e32 v107, v21, v107
	v_fmac_f32_e32 v108, 0xbf27a4f4, v27
	v_mul_f32_e32 v109, 0x3e903f40, v109
	v_add_f32_e32 v38, v38, v96
	v_mov_b32_e32 v151, v150
	v_add_f32_e32 v123, v124, v123
	v_mov_b32_e32 v124, v149
	;; [unrolled: 2-line block ×3, first 2 shown]
	v_add_f32_e32 v38, v38, v97
	v_fmac_f32_e32 v151, 0xbe11bafb, v36
	v_fmac_f32_e32 v124, 0x3ed4b147, v37
	v_mul_f32_e32 v150, 0xbf4178ce, v100
	v_fmac_f32_e32 v108, 0xbf75a155, v28
	v_mul_f32_e32 v112, 0x3f7d64f0, v112
	v_add_f32_e32 v38, v38, v98
	v_add_f32_e32 v119, v151, v119
	;; [unrolled: 1-line block ×3, first 2 shown]
	v_fma_f32 v123, v22, s7, -v150
	v_mul_f32_e32 v151, 0x3f7d64f0, v101
	v_add_f32_e32 v107, v108, v107
	v_mov_b32_e32 v108, v112
	v_add_f32_e32 v30, v38, v30
	v_add_f32_e32 v123, v20, v123
	v_fma_f32 v152, v23, s6, -v151
	v_fmac_f32_e32 v108, 0xbe11bafb, v29
	v_mul_f32_e32 v116, 0x3f0a6770, v116
	v_add_f32_e32 v30, v30, v31
	v_add_f32_e32 v123, v152, v123
	v_mul_f32_e32 v152, 0xbf0a6770, v102
	v_add_f32_e32 v107, v108, v107
	v_mov_b32_e32 v108, v116
	v_mul_f32_e32 v139, 0xbf68dda4, v100
	v_add_f32_e32 v30, v30, v32
	v_fma_f32 v153, v24, s4, -v152
	v_fmac_f32_e32 v108, 0x3f575c64, v37
	v_fma_f32 v100, v22, s5, -v139
	v_mul_f32_e32 v101, 0xbf4178ce, v101
	v_add_f32_e32 v30, v30, v33
	v_add_f32_e32 v123, v153, v123
	v_mul_f32_e32 v153, 0xbe903f40, v113
	v_add_f32_e32 v108, v108, v107
	v_add_f32_e32 v100, v20, v100
	v_fma_f32 v107, v23, s7, -v101
	v_mul_f32_e32 v102, 0x3e903f40, v102
	v_add_f32_e32 v30, v30, v34
	v_fma_f32 v154, v25, s14, -v153
	v_add_f32_e32 v100, v107, v100
	v_fma_f32 v107, v24, s14, -v102
	v_mul_f32_e32 v113, 0x3f7d64f0, v113
	v_add_f32_e32 v38, v30, v35
	v_fma_f32 v30, v26, s7, -v145
	v_add_f32_e32 v123, v154, v123
	v_mul_f32_e32 v154, 0x3f68dda4, v115
	v_add_f32_e32 v100, v107, v100
	v_fma_f32 v107, v25, s6, -v113
	v_mul_f32_e32 v115, 0x3f0a6770, v115
	v_add_f32_e32 v30, v21, v30
	v_fma_f32 v31, v27, s6, -v146
	;; [unrolled: 3-line block ×3, first 2 shown]
	v_add_f32_e32 v30, v31, v30
	v_fma_f32 v31, v28, s4, -v147
	v_mul_f32_e32 v130, 0x3ed4b147, v27
	v_add_f32_e32 v107, v107, v100
	v_add_f32_e32 v100, v103, v128
	v_add_f32_e32 v30, v31, v30
	v_fma_f32 v31, v29, s14, -v148
	v_mul_f32_e32 v132, 0xbe11bafb, v28
	v_add_f32_e32 v100, v21, v100
	v_add_f32_e32 v103, v104, v130
	;; [unrolled: 1-line block ×3, first 2 shown]
	v_fma_f32 v31, v37, s5, -v149
	v_fmac_f32_e32 v150, 0xbf27a4f4, v22
	v_fma_f32 v26, v26, s5, -v137
	v_fmac_f32_e32 v139, 0x3ed4b147, v22
	v_mul_f32_e32 v134, 0xbf27a4f4, v29
	v_add_f32_e32 v100, v103, v100
	v_add_f32_e32 v103, v105, v132
	;; [unrolled: 1-line block ×4, first 2 shown]
	v_fmac_f32_e32 v151, 0xbe11bafb, v23
	v_add_f32_e32 v21, v21, v26
	v_fma_f32 v26, v27, s7, -v138
	v_add_f32_e32 v20, v20, v139
	v_fmac_f32_e32 v101, 0xbf27a4f4, v23
	v_mul_f32_e32 v136, 0xbf75a155, v37
	v_add_f32_e32 v100, v103, v100
	v_add_f32_e32 v103, v111, v134
	v_add_f32_e32 v30, v151, v30
	v_fmac_f32_e32 v152, 0x3f575c64, v24
	v_add_f32_e32 v21, v26, v21
	v_fma_f32 v26, v28, s14, -v109
	v_add_f32_e32 v20, v101, v20
	v_fmac_f32_e32 v102, 0xbf75a155, v24
	v_add_f32_e32 v100, v103, v100
	v_add_f32_e32 v103, v114, v136
	;; [unrolled: 1-line block ×3, first 2 shown]
	v_fmac_f32_e32 v153, 0xbf75a155, v25
	v_add_f32_e32 v21, v26, v21
	v_fma_f32 v26, v29, s6, -v112
	v_add_f32_e32 v20, v102, v20
	v_fmac_f32_e32 v113, 0xbe11bafb, v25
	v_fma_f32 v155, v36, s5, -v154
	v_add_f32_e32 v100, v103, v100
	v_add_f32_e32 v30, v153, v30
	v_fmac_f32_e32 v154, 0x3ed4b147, v36
	v_add_f32_e32 v21, v26, v21
	v_fma_f32 v26, v37, s4, -v116
	v_add_f32_e32 v20, v113, v20
	v_fmac_f32_e32 v115, 0x3f575c64, v36
	v_lshl_add_u32 v22, v76, 3, v77
	v_add_f32_e32 v123, v155, v123
	v_add_f32_e32 v30, v154, v30
	;; [unrolled: 1-line block ×4, first 2 shown]
	ds_write_b64 v75, v[38:39]
	ds_write2_b64 v22, v[99:100], v[107:108] offset0:20 offset1:40
	ds_write2_b64 v22, v[125:126], v[123:124] offset0:60 offset1:80
	;; [unrolled: 1-line block ×5, first 2 shown]
.LBB0_5:
	s_or_b64 exec, exec, s[0:1]
	s_waitcnt lgkmcnt(0)
	s_barrier
	global_load_dwordx2 v[73:74], v[73:74], off offset:1760
	s_add_u32 s0, s12, 0x6e0
	s_addc_u32 s1, s13, 0
	global_load_dwordx2 v[85:86], v78, s[0:1] offset:176
	global_load_dwordx2 v[87:88], v78, s[0:1] offset:352
	global_load_dwordx2 v[89:90], v78, s[0:1] offset:528
	global_load_dwordx2 v[91:92], v78, s[0:1] offset:704
	global_load_dwordx2 v[93:94], v78, s[0:1] offset:880
	global_load_dwordx2 v[95:96], v78, s[0:1] offset:1056
	global_load_dwordx2 v[97:98], v78, s[0:1] offset:1232
	global_load_dwordx2 v[99:100], v78, s[0:1] offset:1408
	global_load_dwordx2 v[101:102], v78, s[0:1] offset:1584
	ds_read2_b64 v[20:23], v75 offset1:22
	ds_read2_b64 v[24:27], v75 offset0:44 offset1:66
	ds_read2_b64 v[28:31], v75 offset0:88 offset1:110
	;; [unrolled: 1-line block ×4, first 2 shown]
	s_waitcnt vmcnt(5) lgkmcnt(2)
	v_mul_f32_e32 v105, v29, v92
	s_waitcnt vmcnt(4)
	v_mul_f32_e32 v106, v31, v94
	v_mul_f32_e32 v78, v21, v74
	;; [unrolled: 1-line block ×3, first 2 shown]
	v_fma_f32 v103, v20, v73, -v78
	v_fmac_f32_e32 v104, v21, v73
	v_mul_f32_e32 v20, v23, v86
	v_mul_f32_e32 v21, v22, v86
	;; [unrolled: 1-line block ×8, first 2 shown]
	s_waitcnt vmcnt(3) lgkmcnt(1)
	v_mul_f32_e32 v107, v33, v96
	v_mul_f32_e32 v92, v32, v96
	s_waitcnt vmcnt(2)
	v_mul_f32_e32 v108, v35, v98
	v_mul_f32_e32 v94, v34, v98
	s_waitcnt vmcnt(1) lgkmcnt(0)
	v_mul_f32_e32 v109, v37, v100
	v_mul_f32_e32 v96, v36, v100
	s_waitcnt vmcnt(0)
	v_mul_f32_e32 v100, v39, v102
	v_mul_f32_e32 v98, v38, v102
	v_fma_f32 v20, v22, v85, -v20
	v_fmac_f32_e32 v21, v23, v85
	v_fma_f32 v73, v24, v87, -v73
	v_fmac_f32_e32 v74, v25, v87
	;; [unrolled: 2-line block ×9, first 2 shown]
	ds_write2_b64 v75, v[103:104], v[20:21] offset1:22
	ds_write2_b64 v75, v[73:74], v[85:86] offset0:44 offset1:66
	ds_write2_b64 v75, v[87:88], v[89:90] offset0:88 offset1:110
	;; [unrolled: 1-line block ×4, first 2 shown]
	s_waitcnt lgkmcnt(0)
	s_barrier
	ds_read2_b64 v[20:23], v75 offset1:22
	ds_read2_b64 v[24:27], v75 offset0:44 offset1:66
	ds_read2_b64 v[28:31], v75 offset0:88 offset1:110
	;; [unrolled: 1-line block ×4, first 2 shown]
	s_waitcnt lgkmcnt(0)
	v_add_f32_e32 v73, v20, v24
	v_sub_f32_e32 v86, v24, v28
	v_add_f32_e32 v74, v28, v32
	v_sub_f32_e32 v87, v36, v32
	v_add_f32_e32 v88, v24, v36
	v_add_f32_e32 v73, v73, v28
	v_fma_f32 v74, -0.5, v74, v20
	v_sub_f32_e32 v78, v25, v37
	v_add_f32_e32 v86, v86, v87
	v_fma_f32 v87, -0.5, v88, v20
	v_add_f32_e32 v20, v73, v32
	v_mov_b32_e32 v73, v74
	v_sub_f32_e32 v85, v29, v33
	v_fmac_f32_e32 v74, 0x3f737871, v78
	v_fmac_f32_e32 v73, 0xbf737871, v78
	v_mov_b32_e32 v88, v87
	v_fmac_f32_e32 v74, 0x3f167918, v85
	v_fmac_f32_e32 v73, 0xbf167918, v85
	v_add_f32_e32 v89, v20, v36
	v_fmac_f32_e32 v88, 0x3f737871, v85
	v_fmac_f32_e32 v74, 0x3e9e377a, v86
	;; [unrolled: 1-line block ×3, first 2 shown]
	v_sub_f32_e32 v20, v28, v24
	v_sub_f32_e32 v86, v32, v36
	v_fmac_f32_e32 v87, 0xbf737871, v85
	v_fmac_f32_e32 v88, 0xbf167918, v78
	v_add_f32_e32 v20, v20, v86
	v_fmac_f32_e32 v87, 0x3f167918, v78
	v_fmac_f32_e32 v88, 0x3e9e377a, v20
	;; [unrolled: 1-line block ×3, first 2 shown]
	v_add_f32_e32 v20, v21, v25
	v_add_f32_e32 v20, v20, v29
	;; [unrolled: 1-line block ×5, first 2 shown]
	v_fma_f32 v85, -0.5, v20, v21
	v_sub_f32_e32 v20, v24, v36
	v_mov_b32_e32 v86, v85
	v_fmac_f32_e32 v86, 0x3f737871, v20
	v_sub_f32_e32 v24, v28, v32
	v_sub_f32_e32 v28, v25, v29
	;; [unrolled: 1-line block ×3, first 2 shown]
	v_fmac_f32_e32 v85, 0xbf737871, v20
	v_fmac_f32_e32 v86, 0x3f167918, v24
	v_add_f32_e32 v28, v28, v32
	v_fmac_f32_e32 v85, 0xbf167918, v24
	v_fmac_f32_e32 v86, 0x3e9e377a, v28
	;; [unrolled: 1-line block ×3, first 2 shown]
	v_add_f32_e32 v28, v25, v37
	v_fma_f32 v90, -0.5, v28, v21
	v_mov_b32_e32 v91, v90
	v_fmac_f32_e32 v91, 0xbf737871, v24
	v_fmac_f32_e32 v90, 0x3f737871, v24
	;; [unrolled: 1-line block ×4, first 2 shown]
	v_add_f32_e32 v20, v22, v26
	v_add_f32_e32 v20, v20, v30
	;; [unrolled: 1-line block ×3, first 2 shown]
	v_sub_f32_e32 v21, v29, v25
	v_sub_f32_e32 v25, v33, v37
	v_add_f32_e32 v32, v20, v38
	v_add_f32_e32 v20, v30, v34
	;; [unrolled: 1-line block ×3, first 2 shown]
	v_fma_f32 v29, -0.5, v20, v22
	v_fmac_f32_e32 v91, 0x3e9e377a, v21
	v_fmac_f32_e32 v90, 0x3e9e377a, v21
	v_sub_f32_e32 v20, v27, v39
	v_mov_b32_e32 v21, v29
	v_fmac_f32_e32 v21, 0xbf737871, v20
	v_sub_f32_e32 v24, v31, v35
	v_sub_f32_e32 v25, v26, v30
	;; [unrolled: 1-line block ×3, first 2 shown]
	v_fmac_f32_e32 v29, 0x3f737871, v20
	v_fmac_f32_e32 v21, 0xbf167918, v24
	v_add_f32_e32 v25, v25, v28
	v_fmac_f32_e32 v29, 0x3f167918, v24
	v_fmac_f32_e32 v21, 0x3e9e377a, v25
	;; [unrolled: 1-line block ×3, first 2 shown]
	v_add_f32_e32 v25, v26, v38
	v_fma_f32 v33, -0.5, v25, v22
	v_mov_b32_e32 v36, v33
	v_fmac_f32_e32 v36, 0x3f737871, v24
	v_fmac_f32_e32 v33, 0xbf737871, v24
	;; [unrolled: 1-line block ×4, first 2 shown]
	v_add_f32_e32 v20, v23, v27
	v_add_f32_e32 v20, v20, v31
	;; [unrolled: 1-line block ×5, first 2 shown]
	v_sub_f32_e32 v22, v30, v26
	v_sub_f32_e32 v25, v34, v38
	v_fma_f32 v92, -0.5, v20, v23
	v_add_f32_e32 v22, v22, v25
	v_sub_f32_e32 v20, v26, v38
	v_mov_b32_e32 v38, v92
	v_fmac_f32_e32 v36, 0x3e9e377a, v22
	v_fmac_f32_e32 v33, 0x3e9e377a, v22
	;; [unrolled: 1-line block ×3, first 2 shown]
	v_sub_f32_e32 v22, v30, v34
	v_sub_f32_e32 v24, v27, v31
	;; [unrolled: 1-line block ×3, first 2 shown]
	v_fmac_f32_e32 v92, 0xbf737871, v20
	v_fmac_f32_e32 v38, 0x3f167918, v22
	v_add_f32_e32 v24, v24, v25
	v_fmac_f32_e32 v92, 0xbf167918, v22
	v_fmac_f32_e32 v38, 0x3e9e377a, v24
	;; [unrolled: 1-line block ×3, first 2 shown]
	v_add_f32_e32 v24, v27, v39
	v_fmac_f32_e32 v23, -0.5, v24
	v_mov_b32_e32 v30, v23
	v_fmac_f32_e32 v30, 0xbf737871, v22
	v_sub_f32_e32 v24, v31, v27
	v_sub_f32_e32 v25, v35, v39
	v_fmac_f32_e32 v23, 0x3f737871, v22
	v_fmac_f32_e32 v30, 0x3f167918, v20
	v_add_f32_e32 v24, v24, v25
	v_fmac_f32_e32 v23, 0xbf167918, v20
	v_fmac_f32_e32 v30, 0x3e9e377a, v24
	;; [unrolled: 1-line block ×3, first 2 shown]
	v_mul_f32_e32 v31, 0xbf167918, v38
	v_mul_f32_e32 v34, 0xbf737871, v30
	;; [unrolled: 1-line block ×8, first 2 shown]
	v_fmac_f32_e32 v31, 0x3f4f1bbd, v21
	v_fmac_f32_e32 v34, 0x3e9e377a, v36
	v_fmac_f32_e32 v35, 0xbe9e377a, v33
	v_fmac_f32_e32 v39, 0xbf4f1bbd, v29
	v_fmac_f32_e32 v93, 0x3f4f1bbd, v38
	v_fmac_f32_e32 v94, 0x3f737871, v36
	v_fmac_f32_e32 v95, 0x3f737871, v33
	v_fmac_f32_e32 v92, 0x3f167918, v29
	v_add_f32_e32 v24, v89, v32
	v_add_f32_e32 v26, v73, v31
	;; [unrolled: 1-line block ×10, first 2 shown]
	v_sub_f32_e32 v30, v89, v32
	v_sub_f32_e32 v32, v73, v31
	;; [unrolled: 1-line block ×10, first 2 shown]
	s_barrier
	ds_write_b128 v79, v[24:27]
	ds_write_b128 v79, v[20:23] offset:16
	ds_write_b128 v79, v[28:31] offset:32
	;; [unrolled: 1-line block ×4, first 2 shown]
	s_waitcnt lgkmcnt(0)
	s_barrier
	ds_read2_b64 v[36:39], v75 offset0:88 offset1:110
	ds_read2_b64 v[24:27], v75 offset1:22
	ds_read2_b64 v[20:23], v75 offset0:132 offset1:154
	ds_read2_b64 v[85:88], v75 offset0:44 offset1:66
	;; [unrolled: 1-line block ×3, first 2 shown]
	s_waitcnt lgkmcnt(4)
	v_mul_f32_e32 v32, v70, v39
	v_fmac_f32_e32 v32, v69, v38
	s_waitcnt lgkmcnt(2)
	v_mul_f32_e32 v34, v66, v21
	v_fmac_f32_e32 v34, v65, v20
	v_mul_f32_e32 v20, v66, v20
	v_mul_f32_e32 v33, v70, v38
	v_fma_f32 v35, v65, v21, -v20
	v_mul_f32_e32 v38, v64, v23
	v_mul_f32_e32 v20, v64, v22
	v_fma_f32 v33, v69, v39, -v33
	v_fmac_f32_e32 v38, v63, v22
	v_fma_f32 v39, v63, v23, -v20
	s_waitcnt lgkmcnt(0)
	v_mul_f32_e32 v63, v62, v29
	v_mul_f32_e32 v20, v62, v28
	v_fmac_f32_e32 v63, v61, v28
	v_fma_f32 v28, v61, v29, -v20
	v_mul_f32_e32 v61, v68, v31
	v_mul_f32_e32 v20, v68, v30
	v_fmac_f32_e32 v61, v67, v30
	v_fma_f32 v62, v67, v31, -v20
	v_sub_f32_e32 v34, v26, v34
	v_sub_f32_e32 v35, v27, v35
	;; [unrolled: 1-line block ×4, first 2 shown]
	v_fma_f32 v32, v26, 2.0, -v34
	v_fma_f32 v33, v27, 2.0, -v35
	v_sub_f32_e32 v26, v85, v38
	v_sub_f32_e32 v27, v86, v39
	;; [unrolled: 1-line block ×6, first 2 shown]
	v_fma_f32 v20, v24, 2.0, -v22
	v_fma_f32 v21, v25, 2.0, -v23
	;; [unrolled: 1-line block ×8, first 2 shown]
	s_barrier
	ds_write2_b64 v84, v[20:21], v[22:23] offset1:10
	ds_write2_b64 v83, v[32:33], v[34:35] offset1:10
	ds_write2_b64 v82, v[24:25], v[26:27] offset1:10
	ds_write2_b64 v81, v[28:29], v[30:31] offset1:10
	ds_write2_b64 v80, v[36:37], v[38:39] offset1:10
	s_waitcnt lgkmcnt(0)
	s_barrier
	s_and_saveexec_b64 s[0:1], vcc
	s_cbranch_execz .LBB0_7
; %bb.6:
	ds_read2_b64 v[20:23], v75 offset1:20
	ds_read2_b64 v[32:35], v75 offset0:40 offset1:60
	ds_read2_b64 v[24:27], v75 offset0:80 offset1:100
	;; [unrolled: 1-line block ×4, first 2 shown]
	ds_read_b64 v[71:72], v75 offset:1600
.LBB0_7:
	s_or_b64 exec, exec, s[0:1]
	s_and_saveexec_b64 s[0:1], vcc
	s_cbranch_execz .LBB0_9
; %bb.8:
	s_waitcnt lgkmcnt(5)
	v_mul_f32_e32 v61, v13, v23
	s_waitcnt lgkmcnt(0)
	v_mul_f32_e32 v62, v19, v72
	v_mul_f32_e32 v19, v19, v71
	;; [unrolled: 1-line block ×3, first 2 shown]
	v_fmac_f32_e32 v61, v12, v22
	v_fmac_f32_e32 v62, v18, v71
	v_fma_f32 v18, v18, v72, -v19
	v_fma_f32 v19, v12, v23, -v13
	v_mul_f32_e32 v22, v15, v33
	v_mul_f32_e32 v23, v17, v39
	v_sub_f32_e32 v63, v61, v62
	v_fmac_f32_e32 v22, v14, v32
	v_fmac_f32_e32 v23, v16, v38
	v_mul_f32_e32 v64, 0xbf7d64f0, v63
	v_sub_f32_e32 v65, v22, v23
	v_mul_f32_e32 v17, v17, v38
	v_mul_f32_e32 v15, v15, v32
	v_add_f32_e32 v12, v18, v19
	v_mov_b32_e32 v13, v64
	v_mul_f32_e32 v66, 0x3e903f40, v65
	v_fma_f32 v16, v16, v39, -v17
	v_fma_f32 v14, v14, v33, -v15
	v_fmac_f32_e32 v13, 0xbe11bafb, v12
	v_add_f32_e32 v15, v16, v14
	v_mov_b32_e32 v17, v66
	v_add_f32_e32 v13, v21, v13
	v_fmac_f32_e32 v17, 0xbf75a155, v15
	v_add_f32_e32 v13, v17, v13
	v_mul_f32_e32 v17, v5, v35
	v_mul_f32_e32 v32, v11, v37
	;; [unrolled: 1-line block ×3, first 2 shown]
	v_fmac_f32_e32 v17, v4, v34
	v_fmac_f32_e32 v32, v10, v36
	v_mul_f32_e32 v11, v11, v36
	v_fma_f32 v34, v4, v35, -v5
	v_mul_f32_e32 v39, v9, v31
	v_mul_f32_e32 v5, v9, v30
	v_sub_f32_e32 v33, v17, v32
	v_fma_f32 v36, v10, v37, -v11
	v_mul_f32_e32 v37, v7, v25
	v_fmac_f32_e32 v39, v8, v30
	v_fma_f32 v30, v8, v31, -v5
	v_mul_f32_e32 v5, v7, v24
	v_mul_f32_e32 v38, 0x3f68dda4, v33
	v_fmac_f32_e32 v37, v6, v24
	v_fma_f32 v24, v6, v25, -v5
	v_mul_f32_e32 v25, v1, v27
	v_mul_f32_e32 v31, v3, v29
	v_add_f32_e32 v35, v36, v34
	v_mov_b32_e32 v4, v38
	v_sub_f32_e32 v67, v37, v39
	v_fmac_f32_e32 v25, v0, v26
	v_fmac_f32_e32 v31, v2, v28
	;; [unrolled: 1-line block ×3, first 2 shown]
	v_mul_f32_e32 v10, 0xbf0a6770, v67
	v_sub_f32_e32 v68, v25, v31
	v_mul_f32_e32 v3, v3, v28
	v_mul_f32_e32 v1, v1, v26
	v_add_f32_e32 v4, v4, v13
	v_add_f32_e32 v13, v30, v24
	v_mov_b32_e32 v5, v10
	v_mul_f32_e32 v8, 0xbf4178ce, v68
	v_fma_f32 v28, v2, v29, -v3
	v_fma_f32 v26, v0, v27, -v1
	v_fmac_f32_e32 v5, 0x3f575c64, v13
	v_add_f32_e32 v27, v28, v26
	v_mov_b32_e32 v0, v8
	v_sub_f32_e32 v69, v19, v18
	s_mov_b32 s4, 0xbe11bafb
	v_add_f32_e32 v4, v5, v4
	v_fmac_f32_e32 v0, 0xbf27a4f4, v27
	v_add_f32_e32 v29, v62, v61
	v_mul_f32_e32 v11, 0xbf7d64f0, v69
	v_sub_f32_e32 v71, v14, v16
	s_mov_b32 s5, 0xbf75a155
	v_add_f32_e32 v1, v0, v4
	v_fma_f32 v0, v29, s4, -v11
	v_add_f32_e32 v70, v23, v22
	v_mul_f32_e32 v72, 0x3e903f40, v71
	v_sub_f32_e32 v74, v34, v36
	s_mov_b32 s6, 0x3ed4b147
	v_add_f32_e32 v0, v20, v0
	v_fma_f32 v2, v70, s5, -v72
	;; [unrolled: 6-line block ×4, first 2 shown]
	v_add_f32_e32 v82, v31, v25
	v_mul_f32_e32 v84, 0xbf4178ce, v83
	v_add_f32_e32 v0, v2, v0
	v_fma_f32 v2, v82, s12, -v84
	v_mul_f32_e32 v4, 0xbe903f40, v63
	v_add_f32_e32 v0, v2, v0
	v_mov_b32_e32 v2, v4
	v_mul_f32_e32 v5, 0x3f0a6770, v65
	v_fmac_f32_e32 v2, 0xbf75a155, v12
	v_mov_b32_e32 v3, v5
	v_add_f32_e32 v2, v21, v2
	v_fmac_f32_e32 v3, 0x3f575c64, v15
	v_mul_f32_e32 v6, 0xbf4178ce, v33
	v_add_f32_e32 v2, v3, v2
	v_mov_b32_e32 v3, v6
	v_fmac_f32_e32 v3, 0xbf27a4f4, v35
	v_mul_f32_e32 v7, 0x3f68dda4, v67
	v_add_f32_e32 v2, v3, v2
	v_mov_b32_e32 v3, v7
	v_fma_f32 v4, v12, s5, -v4
	v_fmac_f32_e32 v3, 0x3ed4b147, v13
	v_mul_f32_e32 v9, 0xbf7d64f0, v68
	v_add_f32_e32 v4, v21, v4
	v_fma_f32 v5, v15, s7, -v5
	v_add_f32_e32 v2, v3, v2
	v_mov_b32_e32 v3, v9
	v_add_f32_e32 v4, v5, v4
	v_fma_f32 v5, v35, s12, -v6
	v_fmac_f32_e32 v3, 0xbe11bafb, v27
	v_mul_f32_e32 v85, 0xbe903f40, v69
	v_add_f32_e32 v4, v5, v4
	v_fma_f32 v5, v13, s6, -v7
	v_add_f32_e32 v3, v3, v2
	v_fma_f32 v2, v29, s5, -v85
	v_mul_f32_e32 v86, 0x3f0a6770, v71
	v_add_f32_e32 v4, v5, v4
	v_fma_f32 v5, v27, s4, -v9
	v_fmac_f32_e32 v85, 0xbf75a155, v29
	v_add_f32_e32 v2, v20, v2
	v_fma_f32 v87, v70, s7, -v86
	v_add_f32_e32 v5, v5, v4
	v_add_f32_e32 v4, v20, v85
	v_fmac_f32_e32 v86, 0x3f575c64, v70
	v_mul_f32_e32 v85, 0xbf27a4f4, v12
	v_add_f32_e32 v2, v87, v2
	v_mul_f32_e32 v87, 0xbf4178ce, v74
	v_add_f32_e32 v4, v86, v4
	v_mov_b32_e32 v6, v85
	v_mul_f32_e32 v86, 0xbe11bafb, v15
	v_fma_f32 v88, v73, s12, -v87
	v_fmac_f32_e32 v87, 0xbf27a4f4, v73
	v_fmac_f32_e32 v6, 0x3f4178ce, v63
	v_mov_b32_e32 v7, v86
	v_add_f32_e32 v2, v88, v2
	v_mul_f32_e32 v88, 0x3f68dda4, v80
	v_add_f32_e32 v4, v87, v4
	v_add_f32_e32 v6, v21, v6
	v_fmac_f32_e32 v7, 0xbf7d64f0, v65
	v_mul_f32_e32 v87, 0x3f575c64, v35
	v_fma_f32 v89, v79, s6, -v88
	v_fmac_f32_e32 v88, 0x3ed4b147, v79
	v_add_f32_e32 v6, v7, v6
	v_mov_b32_e32 v7, v87
	v_add_f32_e32 v2, v89, v2
	v_mul_f32_e32 v89, 0xbf7d64f0, v83
	v_add_f32_e32 v4, v88, v4
	v_fmac_f32_e32 v7, 0x3f0a6770, v33
	v_mul_f32_e32 v88, 0xbf75a155, v13
	v_fma_f32 v90, v82, s4, -v89
	v_fmac_f32_e32 v89, 0xbe11bafb, v82
	v_add_f32_e32 v6, v7, v6
	v_mov_b32_e32 v7, v88
	v_add_f32_e32 v4, v89, v4
	v_fmac_f32_e32 v7, 0x3e903f40, v67
	v_mul_f32_e32 v89, 0x3ed4b147, v27
	v_add_f32_e32 v6, v7, v6
	v_mov_b32_e32 v7, v89
	v_add_f32_e32 v2, v90, v2
	v_fmac_f32_e32 v7, 0xbf68dda4, v68
	v_mul_f32_e32 v90, 0xbf4178ce, v69
	v_add_f32_e32 v7, v7, v6
	v_mov_b32_e32 v6, v90
	v_mul_f32_e32 v91, 0x3f7d64f0, v71
	v_fmac_f32_e32 v6, 0xbf27a4f4, v29
	v_mov_b32_e32 v9, v91
	v_add_f32_e32 v6, v20, v6
	v_fmac_f32_e32 v9, 0xbe11bafb, v70
	v_mul_f32_e32 v92, 0xbf0a6770, v74
	v_add_f32_e32 v6, v9, v6
	v_mov_b32_e32 v9, v92
	v_fmac_f32_e32 v9, 0x3f575c64, v73
	v_mul_f32_e32 v93, 0xbe903f40, v80
	v_add_f32_e32 v6, v9, v6
	v_mov_b32_e32 v9, v93
	;; [unrolled: 4-line block ×3, first 2 shown]
	v_fmac_f32_e32 v9, 0x3ed4b147, v82
	v_add_f32_e32 v6, v9, v6
	v_fma_f32 v9, v12, s4, -v64
	v_add_f32_e32 v9, v21, v9
	v_fma_f32 v64, v15, s5, -v66
	;; [unrolled: 2-line block ×4, first 2 shown]
	v_mul_f32_e32 v38, 0x3ed4b147, v12
	v_add_f32_e32 v9, v10, v9
	v_fma_f32 v8, v27, s12, -v8
	v_fmac_f32_e32 v11, 0xbe11bafb, v29
	v_mov_b32_e32 v10, v38
	v_mul_f32_e32 v64, 0xbf27a4f4, v15
	v_add_f32_e32 v9, v8, v9
	v_add_f32_e32 v8, v20, v11
	v_fmac_f32_e32 v10, 0x3f68dda4, v63
	v_mov_b32_e32 v11, v64
	v_add_f32_e32 v10, v21, v10
	v_fmac_f32_e32 v11, 0x3f4178ce, v65
	v_mul_f32_e32 v66, 0xbf75a155, v35
	v_fmac_f32_e32 v72, 0xbf75a155, v70
	v_add_f32_e32 v10, v11, v10
	v_mov_b32_e32 v11, v66
	v_add_f32_e32 v8, v72, v8
	v_fmac_f32_e32 v11, 0xbe903f40, v33
	v_mul_f32_e32 v72, 0xbe11bafb, v13
	v_fmac_f32_e32 v78, 0x3ed4b147, v73
	v_add_f32_e32 v10, v11, v10
	v_mov_b32_e32 v11, v72
	v_add_f32_e32 v8, v78, v8
	v_fmac_f32_e32 v11, 0xbf7d64f0, v67
	v_mul_f32_e32 v78, 0x3f575c64, v27
	v_fmac_f32_e32 v81, 0x3f575c64, v79
	v_add_f32_e32 v10, v11, v10
	v_mov_b32_e32 v11, v78
	v_add_f32_e32 v8, v81, v8
	v_fmac_f32_e32 v84, 0xbf27a4f4, v82
	v_fmac_f32_e32 v11, 0xbf0a6770, v68
	v_mul_f32_e32 v81, 0xbf68dda4, v69
	v_add_f32_e32 v8, v84, v8
	v_add_f32_e32 v11, v11, v10
	v_mov_b32_e32 v10, v81
	v_mul_f32_e32 v84, 0xbf4178ce, v71
	v_fmac_f32_e32 v10, 0x3ed4b147, v29
	v_mov_b32_e32 v95, v84
	v_add_f32_e32 v10, v20, v10
	v_fmac_f32_e32 v95, 0xbf27a4f4, v70
	v_add_f32_e32 v10, v95, v10
	v_mul_f32_e32 v95, 0x3e903f40, v74
	v_mov_b32_e32 v96, v95
	v_fmac_f32_e32 v96, 0xbf75a155, v73
	v_add_f32_e32 v10, v96, v10
	v_mul_f32_e32 v96, 0x3f7d64f0, v80
	v_mov_b32_e32 v97, v96
	;; [unrolled: 4-line block ×4, first 2 shown]
	v_mul_f32_e32 v99, 0x3ed4b147, v15
	v_fmac_f32_e32 v12, 0x3f0a6770, v63
	v_mov_b32_e32 v15, v99
	v_add_f32_e32 v12, v21, v12
	v_fmac_f32_e32 v15, 0x3f68dda4, v65
	v_mul_f32_e32 v35, 0xbe11bafb, v35
	v_add_f32_e32 v12, v15, v12
	v_mov_b32_e32 v15, v35
	v_mul_f32_e32 v100, 0xbf27a4f4, v13
	v_fmac_f32_e32 v15, 0x3f7d64f0, v33
	v_mov_b32_e32 v13, v100
	v_add_f32_e32 v12, v15, v12
	v_fmac_f32_e32 v13, 0x3f4178ce, v67
	v_mul_f32_e32 v27, 0xbf75a155, v27
	v_add_f32_e32 v12, v13, v12
	v_mov_b32_e32 v13, v27
	v_fmac_f32_e32 v13, 0x3e903f40, v68
	v_mul_f32_e32 v69, 0xbf0a6770, v69
	v_add_f32_e32 v13, v13, v12
	v_mov_b32_e32 v12, v69
	v_mul_f32_e32 v71, 0xbf68dda4, v71
	v_fmac_f32_e32 v12, 0x3f575c64, v29
	v_mov_b32_e32 v15, v71
	v_add_f32_e32 v12, v20, v12
	v_fmac_f32_e32 v15, 0x3ed4b147, v70
	v_mul_f32_e32 v74, 0xbf7d64f0, v74
	v_add_f32_e32 v12, v15, v12
	v_mov_b32_e32 v15, v74
	v_fmac_f32_e32 v15, 0xbe11bafb, v73
	v_mul_f32_e32 v80, 0xbf4178ce, v80
	v_add_f32_e32 v12, v15, v12
	v_mov_b32_e32 v15, v80
	;; [unrolled: 4-line block ×3, first 2 shown]
	v_fmac_f32_e32 v15, 0xbf75a155, v82
	v_add_f32_e32 v12, v15, v12
	v_add_f32_e32 v15, v19, v21
	;; [unrolled: 1-line block ×9, first 2 shown]
	v_fmac_f32_e32 v85, 0xbf4178ce, v63
	v_add_f32_e32 v14, v16, v14
	v_add_f32_e32 v16, v21, v85
	v_fmac_f32_e32 v86, 0x3f7d64f0, v65
	v_add_f32_e32 v16, v86, v16
	v_fmac_f32_e32 v87, 0xbf0a6770, v33
	v_add_f32_e32 v15, v18, v14
	v_add_f32_e32 v14, v20, v61
	;; [unrolled: 1-line block ×3, first 2 shown]
	v_fmac_f32_e32 v88, 0xbe903f40, v67
	v_add_f32_e32 v14, v22, v14
	v_add_f32_e32 v16, v88, v16
	v_fmac_f32_e32 v89, 0x3f68dda4, v68
	v_add_f32_e32 v14, v17, v14
	v_add_f32_e32 v17, v89, v16
	v_fma_f32 v16, v29, s12, -v90
	v_add_f32_e32 v16, v20, v16
	v_fma_f32 v18, v70, s4, -v91
	;; [unrolled: 2-line block ×5, first 2 shown]
	v_fmac_f32_e32 v38, 0xbf68dda4, v63
	v_add_f32_e32 v16, v18, v16
	v_add_f32_e32 v18, v21, v38
	v_fmac_f32_e32 v64, 0xbf4178ce, v65
	v_add_f32_e32 v18, v64, v18
	v_fmac_f32_e32 v66, 0x3e903f40, v33
	;; [unrolled: 2-line block ×4, first 2 shown]
	v_add_f32_e32 v19, v78, v18
	v_fma_f32 v18, v29, s6, -v81
	v_add_f32_e32 v18, v20, v18
	v_fma_f32 v22, v70, s12, -v84
	v_add_f32_e32 v14, v37, v14
	v_add_f32_e32 v18, v22, v18
	v_fma_f32 v22, v73, s5, -v95
	v_add_f32_e32 v14, v25, v14
	;; [unrolled: 3-line block ×4, first 2 shown]
	v_add_f32_e32 v18, v22, v18
	v_fmac_f32_e32 v98, 0xbf0a6770, v63
	v_fma_f32 v22, v29, s7, -v69
	v_add_f32_e32 v14, v32, v14
	v_add_f32_e32 v21, v21, v98
	v_fmac_f32_e32 v99, 0xbf68dda4, v65
	v_add_f32_e32 v20, v20, v22
	v_fma_f32 v22, v70, s6, -v71
	v_add_f32_e32 v14, v23, v14
	v_add_f32_e32 v21, v99, v21
	v_fmac_f32_e32 v35, 0xbf7d64f0, v33
	v_add_f32_e32 v20, v22, v20
	;; [unrolled: 5-line block ×3, first 2 shown]
	v_fma_f32 v22, v79, s12, -v80
	v_add_f32_e32 v21, v100, v21
	v_fmac_f32_e32 v27, 0xbe903f40, v68
	v_add_f32_e32 v20, v22, v20
	v_fma_f32 v22, v82, s5, -v83
	ds_write_b64 v75, v[14:15]
	v_lshl_add_u32 v14, v76, 3, v77
	v_add_f32_e32 v21, v27, v21
	v_add_f32_e32 v20, v22, v20
	ds_write2_b64 v14, v[12:13], v[10:11] offset0:20 offset1:40
	ds_write2_b64 v14, v[8:9], v[6:7] offset0:60 offset1:80
	;; [unrolled: 1-line block ×5, first 2 shown]
.LBB0_9:
	s_or_b64 exec, exec, s[0:1]
	s_waitcnt lgkmcnt(0)
	s_barrier
	ds_read2_b64 v[0:3], v75 offset1:22
	v_mad_u64_u32 v[4:5], s[0:1], s10, v46, 0
	s_mov_b32 s0, 0x29e4129e
	s_mov_b32 s1, 0x3f729e41
	s_waitcnt lgkmcnt(0)
	v_mul_f32_e32 v6, v60, v1
	v_fmac_f32_e32 v6, v59, v0
	v_cvt_f64_f32_e32 v[6:7], v6
	v_mul_f32_e32 v0, v60, v0
	v_fma_f32 v0, v59, v1, -v0
	v_cvt_f64_f32_e32 v[0:1], v0
	v_mul_f64 v[6:7], v[6:7], s[0:1]
	v_mad_u64_u32 v[8:9], s[4:5], s8, v76, 0
	v_mul_f64 v[0:1], v[0:1], s[0:1]
	v_mad_u64_u32 v[10:11], s[4:5], s11, v46, v[5:6]
	v_mov_b32_e32 v5, v9
	v_mad_u64_u32 v[11:12], s[4:5], s9, v76, v[5:6]
	v_mov_b32_e32 v5, v10
	v_cvt_f32_f64_e32 v6, v[6:7]
	v_cvt_f32_f64_e32 v7, v[0:1]
	v_lshlrev_b64 v[0:1], 3, v[4:5]
	v_mul_f32_e32 v4, v58, v3
	v_fmac_f32_e32 v4, v57, v2
	v_mul_f32_e32 v2, v58, v2
	v_fma_f32 v2, v57, v3, -v2
	v_mov_b32_e32 v9, v11
	v_mov_b32_e32 v10, s3
	v_cvt_f64_f32_e32 v[2:3], v2
	v_add_co_u32_e32 v11, vcc, s2, v0
	v_cvt_f64_f32_e32 v[4:5], v4
	v_addc_co_u32_e32 v12, vcc, v10, v1, vcc
	v_lshlrev_b64 v[0:1], 3, v[8:9]
	v_mul_f64 v[8:9], v[2:3], s[0:1]
	v_add_co_u32_e32 v10, vcc, v11, v0
	v_addc_co_u32_e32 v11, vcc, v12, v1, vcc
	ds_read2_b64 v[0:3], v75 offset0:44 offset1:66
	v_mul_f64 v[4:5], v[4:5], s[0:1]
	global_store_dwordx2 v[10:11], v[6:7], off
	s_mul_i32 s2, s9, 0xb0
	s_mul_hi_u32 s3, s8, 0xb0
	s_waitcnt lgkmcnt(0)
	v_mul_f32_e32 v6, v56, v1
	v_fmac_f32_e32 v6, v55, v0
	v_mul_f32_e32 v0, v56, v0
	v_fma_f32 v0, v55, v1, -v0
	v_cvt_f64_f32_e32 v[6:7], v6
	v_cvt_f64_f32_e32 v[0:1], v0
	v_cvt_f32_f64_e32 v4, v[4:5]
	v_cvt_f32_f64_e32 v5, v[8:9]
	s_add_i32 s2, s3, s2
	s_mul_i32 s3, s8, 0xb0
	v_mov_b32_e32 v9, s2
	v_add_co_u32_e32 v8, vcc, s3, v10
	v_mul_f64 v[6:7], v[6:7], s[0:1]
	v_addc_co_u32_e32 v9, vcc, v11, v9, vcc
	v_mul_f64 v[0:1], v[0:1], s[0:1]
	global_store_dwordx2 v[8:9], v[4:5], off
	v_mul_f32_e32 v5, v52, v3
	v_fmac_f32_e32 v5, v51, v2
	v_mul_f32_e32 v2, v52, v2
	v_fma_f32 v2, v51, v3, -v2
	v_cvt_f64_f32_e32 v[2:3], v2
	v_cvt_f32_f64_e32 v4, v[6:7]
	v_cvt_f64_f32_e32 v[6:7], v5
	v_cvt_f32_f64_e32 v5, v[0:1]
	v_mul_f64 v[10:11], v[2:3], s[0:1]
	ds_read2_b64 v[0:3], v75 offset0:88 offset1:110
	v_mov_b32_e32 v12, s2
	v_add_co_u32_e32 v8, vcc, s3, v8
	v_addc_co_u32_e32 v9, vcc, v9, v12, vcc
	global_store_dwordx2 v[8:9], v[4:5], off
	s_waitcnt lgkmcnt(0)
	v_mul_f32_e32 v4, v54, v1
	v_fmac_f32_e32 v4, v53, v0
	v_cvt_f64_f32_e32 v[4:5], v4
	v_mul_f32_e32 v0, v54, v0
	v_fma_f32 v0, v53, v1, -v0
	v_mul_f64 v[6:7], v[6:7], s[0:1]
	v_mul_f64 v[4:5], v[4:5], s[0:1]
	v_cvt_f64_f32_e32 v[0:1], v0
	v_add_co_u32_e32 v8, vcc, s3, v8
	v_mul_f64 v[0:1], v[0:1], s[0:1]
	v_cvt_f32_f64_e32 v6, v[6:7]
	v_cvt_f32_f64_e32 v4, v[4:5]
	v_mul_f32_e32 v5, v48, v3
	v_fmac_f32_e32 v5, v47, v2
	v_mul_f32_e32 v2, v48, v2
	v_fma_f32 v2, v47, v3, -v2
	v_cvt_f32_f64_e32 v7, v[10:11]
	v_cvt_f64_f32_e32 v[2:3], v2
	v_mov_b32_e32 v10, s2
	v_addc_co_u32_e32 v9, vcc, v9, v10, vcc
	global_store_dwordx2 v[8:9], v[6:7], off
	v_cvt_f64_f32_e32 v[6:7], v5
	v_cvt_f32_f64_e32 v5, v[0:1]
	v_mul_f64 v[10:11], v[2:3], s[0:1]
	ds_read2_b64 v[0:3], v75 offset0:132 offset1:154
	v_add_co_u32_e32 v8, vcc, s3, v8
	v_addc_co_u32_e32 v9, vcc, v9, v12, vcc
	global_store_dwordx2 v[8:9], v[4:5], off
	s_waitcnt lgkmcnt(0)
	v_mul_f32_e32 v4, v50, v1
	v_fmac_f32_e32 v4, v49, v0
	v_cvt_f64_f32_e32 v[4:5], v4
	v_mul_f64 v[6:7], v[6:7], s[0:1]
	v_mul_f32_e32 v0, v50, v0
	v_fma_f32 v0, v49, v1, -v0
	v_mul_f64 v[4:5], v[4:5], s[0:1]
	v_cvt_f64_f32_e32 v[0:1], v0
	v_add_co_u32_e32 v8, vcc, s3, v8
	v_cvt_f32_f64_e32 v6, v[6:7]
	v_cvt_f32_f64_e32 v7, v[10:11]
	v_mov_b32_e32 v10, s2
	v_mul_f64 v[0:1], v[0:1], s[0:1]
	v_cvt_f32_f64_e32 v4, v[4:5]
	v_mul_f32_e32 v5, v45, v3
	v_addc_co_u32_e32 v9, vcc, v9, v10, vcc
	v_fmac_f32_e32 v5, v44, v2
	global_store_dwordx2 v[8:9], v[6:7], off
	v_cvt_f64_f32_e32 v[6:7], v5
	v_mul_f32_e32 v2, v45, v2
	v_fma_f32 v2, v44, v3, -v2
	v_cvt_f64_f32_e32 v[2:3], v2
	v_mul_f64 v[6:7], v[6:7], s[0:1]
	v_cvt_f32_f64_e32 v5, v[0:1]
	v_mov_b32_e32 v0, s2
	v_add_co_u32_e32 v8, vcc, s3, v8
	v_mul_f64 v[10:11], v[2:3], s[0:1]
	v_addc_co_u32_e32 v9, vcc, v9, v0, vcc
	ds_read2_b64 v[0:3], v75 offset0:176 offset1:198
	global_store_dwordx2 v[8:9], v[4:5], off
	v_cvt_f32_f64_e32 v4, v[6:7]
	v_add_co_u32_e32 v8, vcc, s3, v8
	s_waitcnt lgkmcnt(0)
	v_mul_f32_e32 v6, v43, v1
	v_fmac_f32_e32 v6, v42, v0
	v_mul_f32_e32 v0, v43, v0
	v_fma_f32 v0, v42, v1, -v0
	v_cvt_f32_f64_e32 v5, v[10:11]
	v_cvt_f64_f32_e32 v[6:7], v6
	v_cvt_f64_f32_e32 v[0:1], v0
	v_mov_b32_e32 v10, s2
	v_addc_co_u32_e32 v9, vcc, v9, v10, vcc
	global_store_dwordx2 v[8:9], v[4:5], off
	v_mul_f64 v[4:5], v[6:7], s[0:1]
	v_mul_f64 v[0:1], v[0:1], s[0:1]
	v_mul_f32_e32 v6, v41, v3
	v_fmac_f32_e32 v6, v40, v2
	v_mul_f32_e32 v2, v41, v2
	v_fma_f32 v2, v40, v3, -v2
	v_cvt_f64_f32_e32 v[6:7], v6
	v_cvt_f64_f32_e32 v[2:3], v2
	v_cvt_f32_f64_e32 v4, v[4:5]
	v_cvt_f32_f64_e32 v5, v[0:1]
	v_mul_f64 v[0:1], v[6:7], s[0:1]
	v_mul_f64 v[2:3], v[2:3], s[0:1]
	v_mov_b32_e32 v7, s2
	v_add_co_u32_e32 v6, vcc, s3, v8
	v_addc_co_u32_e32 v7, vcc, v9, v7, vcc
	global_store_dwordx2 v[6:7], v[4:5], off
	v_cvt_f32_f64_e32 v0, v[0:1]
	v_cvt_f32_f64_e32 v1, v[2:3]
	v_mov_b32_e32 v3, s2
	v_add_co_u32_e32 v2, vcc, s3, v6
	v_addc_co_u32_e32 v3, vcc, v7, v3, vcc
	global_store_dwordx2 v[2:3], v[0:1], off
.LBB0_10:
	s_endpgm
	.section	.rodata,"a",@progbits
	.p2align	6, 0x0
	.amdhsa_kernel bluestein_single_back_len220_dim1_sp_op_CI_CI
		.amdhsa_group_segment_fixed_size 8800
		.amdhsa_private_segment_fixed_size 0
		.amdhsa_kernarg_size 104
		.amdhsa_user_sgpr_count 6
		.amdhsa_user_sgpr_private_segment_buffer 1
		.amdhsa_user_sgpr_dispatch_ptr 0
		.amdhsa_user_sgpr_queue_ptr 0
		.amdhsa_user_sgpr_kernarg_segment_ptr 1
		.amdhsa_user_sgpr_dispatch_id 0
		.amdhsa_user_sgpr_flat_scratch_init 0
		.amdhsa_user_sgpr_private_segment_size 0
		.amdhsa_uses_dynamic_stack 0
		.amdhsa_system_sgpr_private_segment_wavefront_offset 0
		.amdhsa_system_sgpr_workgroup_id_x 1
		.amdhsa_system_sgpr_workgroup_id_y 0
		.amdhsa_system_sgpr_workgroup_id_z 0
		.amdhsa_system_sgpr_workgroup_info 0
		.amdhsa_system_vgpr_workitem_id 0
		.amdhsa_next_free_vgpr 156
		.amdhsa_next_free_sgpr 20
		.amdhsa_reserve_vcc 1
		.amdhsa_reserve_flat_scratch 0
		.amdhsa_float_round_mode_32 0
		.amdhsa_float_round_mode_16_64 0
		.amdhsa_float_denorm_mode_32 3
		.amdhsa_float_denorm_mode_16_64 3
		.amdhsa_dx10_clamp 1
		.amdhsa_ieee_mode 1
		.amdhsa_fp16_overflow 0
		.amdhsa_exception_fp_ieee_invalid_op 0
		.amdhsa_exception_fp_denorm_src 0
		.amdhsa_exception_fp_ieee_div_zero 0
		.amdhsa_exception_fp_ieee_overflow 0
		.amdhsa_exception_fp_ieee_underflow 0
		.amdhsa_exception_fp_ieee_inexact 0
		.amdhsa_exception_int_div_zero 0
	.end_amdhsa_kernel
	.text
.Lfunc_end0:
	.size	bluestein_single_back_len220_dim1_sp_op_CI_CI, .Lfunc_end0-bluestein_single_back_len220_dim1_sp_op_CI_CI
                                        ; -- End function
	.section	.AMDGPU.csdata,"",@progbits
; Kernel info:
; codeLenInByte = 9904
; NumSgprs: 24
; NumVgprs: 156
; ScratchSize: 0
; MemoryBound: 0
; FloatMode: 240
; IeeeMode: 1
; LDSByteSize: 8800 bytes/workgroup (compile time only)
; SGPRBlocks: 2
; VGPRBlocks: 38
; NumSGPRsForWavesPerEU: 24
; NumVGPRsForWavesPerEU: 156
; Occupancy: 1
; WaveLimiterHint : 1
; COMPUTE_PGM_RSRC2:SCRATCH_EN: 0
; COMPUTE_PGM_RSRC2:USER_SGPR: 6
; COMPUTE_PGM_RSRC2:TRAP_HANDLER: 0
; COMPUTE_PGM_RSRC2:TGID_X_EN: 1
; COMPUTE_PGM_RSRC2:TGID_Y_EN: 0
; COMPUTE_PGM_RSRC2:TGID_Z_EN: 0
; COMPUTE_PGM_RSRC2:TIDIG_COMP_CNT: 0
	.type	__hip_cuid_e843ba51376391a4,@object ; @__hip_cuid_e843ba51376391a4
	.section	.bss,"aw",@nobits
	.globl	__hip_cuid_e843ba51376391a4
__hip_cuid_e843ba51376391a4:
	.byte	0                               ; 0x0
	.size	__hip_cuid_e843ba51376391a4, 1

	.ident	"AMD clang version 19.0.0git (https://github.com/RadeonOpenCompute/llvm-project roc-6.4.0 25133 c7fe45cf4b819c5991fe208aaa96edf142730f1d)"
	.section	".note.GNU-stack","",@progbits
	.addrsig
	.addrsig_sym __hip_cuid_e843ba51376391a4
	.amdgpu_metadata
---
amdhsa.kernels:
  - .args:
      - .actual_access:  read_only
        .address_space:  global
        .offset:         0
        .size:           8
        .value_kind:     global_buffer
      - .actual_access:  read_only
        .address_space:  global
        .offset:         8
        .size:           8
        .value_kind:     global_buffer
      - .actual_access:  read_only
        .address_space:  global
        .offset:         16
        .size:           8
        .value_kind:     global_buffer
      - .actual_access:  read_only
        .address_space:  global
        .offset:         24
        .size:           8
        .value_kind:     global_buffer
      - .actual_access:  read_only
        .address_space:  global
        .offset:         32
        .size:           8
        .value_kind:     global_buffer
      - .offset:         40
        .size:           8
        .value_kind:     by_value
      - .address_space:  global
        .offset:         48
        .size:           8
        .value_kind:     global_buffer
      - .address_space:  global
        .offset:         56
        .size:           8
        .value_kind:     global_buffer
      - .address_space:  global
        .offset:         64
        .size:           8
        .value_kind:     global_buffer
      - .address_space:  global
        .offset:         72
        .size:           8
        .value_kind:     global_buffer
      - .offset:         80
        .size:           4
        .value_kind:     by_value
      - .address_space:  global
        .offset:         88
        .size:           8
        .value_kind:     global_buffer
      - .address_space:  global
        .offset:         96
        .size:           8
        .value_kind:     global_buffer
    .group_segment_fixed_size: 8800
    .kernarg_segment_align: 8
    .kernarg_segment_size: 104
    .language:       OpenCL C
    .language_version:
      - 2
      - 0
    .max_flat_workgroup_size: 110
    .name:           bluestein_single_back_len220_dim1_sp_op_CI_CI
    .private_segment_fixed_size: 0
    .sgpr_count:     24
    .sgpr_spill_count: 0
    .symbol:         bluestein_single_back_len220_dim1_sp_op_CI_CI.kd
    .uniform_work_group_size: 1
    .uses_dynamic_stack: false
    .vgpr_count:     156
    .vgpr_spill_count: 0
    .wavefront_size: 64
amdhsa.target:   amdgcn-amd-amdhsa--gfx906
amdhsa.version:
  - 1
  - 2
...

	.end_amdgpu_metadata
